;; amdgpu-corpus repo=zjin-lcf/HeCBench kind=compiled arch=gfx1030 opt=O3
	.amdgcn_target "amdgcn-amd-amdhsa--gfx1030"
	.amdhsa_code_object_version 6
	.text
	.protected	_Z13matern_kernelifPKfS0_S0_Pf ; -- Begin function _Z13matern_kernelifPKfS0_S0_Pf
	.globl	_Z13matern_kernelifPKfS0_S0_Pf
	.p2align	8
	.type	_Z13matern_kernelifPKfS0_S0_Pf,@function
_Z13matern_kernelifPKfS0_S0_Pf:         ; @_Z13matern_kernelifPKfS0_S0_Pf
; %bb.0:
	s_clause 0x1
	s_load_dword s0, s[4:5], 0x34
	s_load_dwordx2 s[2:3], s[4:5], 0x0
	s_waitcnt lgkmcnt(0)
	s_and_b32 s0, s0, 0xffff
	v_mad_u64_u32 v[2:3], null, s6, s0, v[0:1]
	s_mov_b32 s0, exec_lo
	v_cmpx_gt_i32_e64 s2, v2
	s_cbranch_execz .LBB0_8
; %bb.1:
	v_cmp_gt_u32_e32 vcc_lo, 50, v1
	s_and_b32 exec_lo, exec_lo, vcc_lo
	s_cbranch_execz .LBB0_8
; %bb.2:
	v_cmp_eq_u32_e64 s0, 0, v1
	v_mul_u32_u24_e32 v4, 12, v0
	v_mad_u32_u24 v5, v0, 12, 0xfb0
	s_and_saveexec_b32 s1, s0
	s_cbranch_execz .LBB0_4
; %bb.3:
	s_load_dwordx2 s[6:7], s[4:5], 0x10
	v_lshl_add_u32 v6, v2, 1, v2
	v_ashrrev_i32_e32 v7, 31, v6
	v_lshlrev_b64 v[6:7], 2, v[6:7]
	s_waitcnt lgkmcnt(0)
	v_add_co_u32 v6, vcc_lo, s6, v6
	v_add_co_ci_u32_e64 v7, null, s7, v7, vcc_lo
	global_load_dwordx3 v[6:8], v[6:7], off
	s_waitcnt vmcnt(0)
	ds_write2_b32 v5, v6, v7 offset1:1
	ds_write_b32 v4, v8 offset:4024
.LBB0_4:
	s_or_b32 exec_lo, exec_lo, s1
	v_lshlrev_b32_e32 v3, 2, v1
	s_mov_b32 s1, exec_lo
	v_cmpx_eq_u32_e32 0, v0
	s_cbranch_execz .LBB0_6
; %bb.5:
	s_clause 0x1
	s_load_dwordx2 s[6:7], s[4:5], 0x8
	s_load_dwordx2 s[8:9], s[4:5], 0x18
	v_mul_u32_u24_e32 v6, 3, v1
	v_lshlrev_b32_e32 v9, 2, v6
	s_waitcnt lgkmcnt(0)
	global_load_dwordx3 v[6:8], v9, s[6:7]
	global_load_dword v10, v3, s[8:9]
	v_add_nc_u32_e32 v11, 0xc80, v9
	s_waitcnt vmcnt(1)
	ds_write2_b32 v11, v6, v7 offset1:1
	ds_write_b32 v9, v8 offset:3208
	s_waitcnt vmcnt(0)
	ds_write_b32 v3, v10 offset:3808
.LBB0_6:
	s_or_b32 exec_lo, exec_lo, s1
	v_mad_u32_u24 v7, v1, 12, 0xc80
	s_waitcnt lgkmcnt(0)
	s_barrier
	buffer_gl0_inv
	ds_read2_b32 v[5:6], v5 offset1:1
	ds_read2_b32 v[7:8], v7 offset1:1
	v_mul_u32_u24_e32 v1, 12, v1
	ds_read_b32 v4, v4 offset:4024
	ds_read_b32 v9, v3 offset:3808
	;; [unrolled: 1-line block ×3, first 2 shown]
	v_mad_u32_u24 v3, 0xc8, v0, v3
	s_waitcnt lgkmcnt(3)
	v_sub_f32_e32 v6, v6, v8
	v_sub_f32_e32 v5, v5, v7
	s_waitcnt lgkmcnt(0)
	v_sub_f32_e32 v1, v4, v1
	v_mul_f32_e32 v6, v6, v6
	v_fmac_f32_e32 v6, v5, v5
	v_fmac_f32_e32 v6, v1, v1
	v_mul_f32_e32 v1, 0x4f800000, v6
	v_cmp_gt_f32_e32 vcc_lo, 0xf800000, v6
	v_cndmask_b32_e32 v1, v6, v1, vcc_lo
	v_mul_f32_e32 v6, 0x40a00000, v6
	v_sqrt_f32_e32 v4, v1
	v_add_nc_u32_e32 v5, -1, v4
	v_add_nc_u32_e32 v7, 1, v4
	v_fma_f32 v8, -v5, v4, v1
	v_fma_f32 v10, -v7, v4, v1
	v_cmp_ge_f32_e64 s1, 0, v8
	v_cndmask_b32_e64 v4, v4, v5, s1
	v_cmp_lt_f32_e64 s1, 0, v10
	v_cndmask_b32_e64 v4, v4, v7, s1
	v_mul_f32_e64 v7, 0x40400000, s3
	v_mul_f32_e32 v5, 0x37800000, v4
	v_cndmask_b32_e32 v4, v4, v5, vcc_lo
	v_cmp_class_f32_e64 vcc_lo, v1, 0x260
	v_mul_f32_e32 v5, s3, v7
	v_cndmask_b32_e32 v1, v4, v1, vcc_lo
	v_div_scale_f32 v4, null, v5, v5, v6
	v_div_scale_f32 v15, s1, v6, v5, v6
	v_mul_f32_e32 v7, 0x400f1bbd, v1
	v_mul_f32_e32 v1, 0xc00f1bbd, v1
	v_rcp_f32_e32 v8, v4
	v_div_scale_f32 v10, null, s3, s3, v7
	v_div_scale_f32 v11, null, s3, s3, v1
	v_div_scale_f32 v17, vcc_lo, v7, s3, v7
	v_rcp_f32_e32 v12, v10
	v_rcp_f32_e32 v13, v11
	v_fma_f32 v14, -v4, v8, 1.0
	v_fmac_f32_e32 v8, v14, v8
	v_fma_f32 v16, -v10, v12, 1.0
	v_fma_f32 v14, -v11, v13, 1.0
	v_mul_f32_e32 v18, v15, v8
	v_fmac_f32_e32 v12, v16, v12
	v_div_scale_f32 v16, s2, v1, s3, v1
	v_fmac_f32_e32 v13, v14, v13
	v_fma_f32 v21, -v4, v18, v15
	v_mul_f32_e32 v14, v17, v12
	v_mul_f32_e32 v19, v16, v13
	v_fmac_f32_e32 v18, v21, v8
	v_fma_f32 v20, -v10, v14, v17
	v_fma_f32 v22, -v11, v19, v16
	;; [unrolled: 1-line block ×3, first 2 shown]
	v_fmac_f32_e32 v14, v20, v12
	v_fmac_f32_e32 v19, v22, v13
	v_fma_f32 v10, -v10, v14, v17
	v_fma_f32 v11, -v11, v19, v16
	v_div_fmas_f32 v10, v10, v12, v14
	s_mov_b32 vcc_lo, s1
	v_div_fmas_f32 v4, v4, v8, v18
	s_mov_b32 vcc_lo, s2
	v_div_fixup_f32 v7, v10, s3, v7
	v_div_fmas_f32 v8, v11, v13, v19
	v_div_fixup_f32 v4, v4, v5, v6
	v_add_f32_e32 v5, 1.0, v7
	v_div_fixup_f32 v1, v8, s3, v1
	v_add_f32_e32 v4, v4, v5
	v_mul_f32_e32 v8, 0x3fb8aa3b, v1
	v_cmp_ngt_f32_e32 vcc_lo, 0xc2ce8ed0, v1
	v_fma_f32 v11, 0x3fb8aa3b, v1, -v8
	v_rndne_f32_e32 v12, v8
	v_fmamk_f32 v11, v1, 0x32a5705f, v11
	v_sub_f32_e32 v8, v8, v12
	v_add_f32_e32 v8, v8, v11
	v_cvt_i32_f32_e32 v11, v12
	v_exp_f32_e32 v8, v8
	v_ldexp_f32 v8, v8, v11
	v_cndmask_b32_e32 v6, 0, v8, vcc_lo
	v_cmp_nlt_f32_e32 vcc_lo, 0x42b17218, v1
	v_cndmask_b32_e32 v1, 0x7f800000, v6, vcc_lo
	v_mul_f32_e32 v1, v1, v4
	v_mul_f32_e32 v1, v1, v9
	ds_write_b32 v3, v1
	s_waitcnt lgkmcnt(0)
	s_barrier
	buffer_gl0_inv
	s_and_b32 exec_lo, exec_lo, s0
	s_cbranch_execz .LBB0_8
; %bb.7:
	v_mul_u32_u24_e32 v0, 0xc8, v0
	s_load_dwordx2 s[0:1], s[4:5], 0x20
	ds_read2_b64 v[3:6], v0 offset1:1
	ds_read2_b64 v[7:10], v0 offset0:2 offset1:3
	s_waitcnt lgkmcnt(0)
	v_add_f32_e32 v1, 0, v3
	v_add_f32_e32 v1, v1, v4
	;; [unrolled: 1-line block ×4, first 2 shown]
	ds_read2_b64 v[3:6], v0 offset0:4 offset1:5
	v_add_f32_e32 v1, v1, v7
	v_add_f32_e32 v1, v1, v8
	v_add_f32_e32 v1, v1, v9
	v_add_f32_e32 v1, v1, v10
	ds_read2_b64 v[7:10], v0 offset0:6 offset1:7
	s_waitcnt lgkmcnt(1)
	v_add_f32_e32 v1, v1, v3
	v_add_f32_e32 v1, v1, v4
	v_add_f32_e32 v1, v1, v5
	v_add_f32_e32 v1, v1, v6
	ds_read2_b64 v[3:6], v0 offset0:8 offset1:9
	s_waitcnt lgkmcnt(1)
	;; [unrolled: 6-line block ×9, first 2 shown]
	v_add_f32_e32 v1, v1, v3
	v_add_f32_e32 v1, v1, v4
	;; [unrolled: 1-line block ×4, first 2 shown]
	ds_read_b64 v[0:1], v0 offset:192
	s_waitcnt lgkmcnt(1)
	v_add_f32_e32 v3, v3, v7
	v_add_f32_e32 v3, v3, v8
	;; [unrolled: 1-line block ×4, first 2 shown]
	v_ashrrev_i32_e32 v3, 31, v2
	s_waitcnt lgkmcnt(0)
	v_add_f32_e32 v0, v4, v0
	v_lshlrev_b64 v[2:3], 2, v[2:3]
	v_add_f32_e32 v4, v0, v1
	v_add_co_u32 v0, vcc_lo, s0, v2
	v_add_co_ci_u32_e64 v1, null, s1, v3, vcc_lo
	global_store_dword v[0:1], v4, off
.LBB0_8:
	s_endpgm
	.section	.rodata,"a",@progbits
	.p2align	6, 0x0
	.amdhsa_kernel _Z13matern_kernelifPKfS0_S0_Pf
		.amdhsa_group_segment_fixed_size 4208
		.amdhsa_private_segment_fixed_size 0
		.amdhsa_kernarg_size 296
		.amdhsa_user_sgpr_count 6
		.amdhsa_user_sgpr_private_segment_buffer 1
		.amdhsa_user_sgpr_dispatch_ptr 0
		.amdhsa_user_sgpr_queue_ptr 0
		.amdhsa_user_sgpr_kernarg_segment_ptr 1
		.amdhsa_user_sgpr_dispatch_id 0
		.amdhsa_user_sgpr_flat_scratch_init 0
		.amdhsa_user_sgpr_private_segment_size 0
		.amdhsa_wavefront_size32 1
		.amdhsa_uses_dynamic_stack 0
		.amdhsa_system_sgpr_private_segment_wavefront_offset 0
		.amdhsa_system_sgpr_workgroup_id_x 1
		.amdhsa_system_sgpr_workgroup_id_y 0
		.amdhsa_system_sgpr_workgroup_id_z 0
		.amdhsa_system_sgpr_workgroup_info 0
		.amdhsa_system_vgpr_workitem_id 1
		.amdhsa_next_free_vgpr 23
		.amdhsa_next_free_sgpr 10
		.amdhsa_reserve_vcc 1
		.amdhsa_reserve_flat_scratch 0
		.amdhsa_float_round_mode_32 0
		.amdhsa_float_round_mode_16_64 0
		.amdhsa_float_denorm_mode_32 3
		.amdhsa_float_denorm_mode_16_64 3
		.amdhsa_dx10_clamp 1
		.amdhsa_ieee_mode 1
		.amdhsa_fp16_overflow 0
		.amdhsa_workgroup_processor_mode 1
		.amdhsa_memory_ordered 1
		.amdhsa_forward_progress 1
		.amdhsa_shared_vgpr_count 0
		.amdhsa_exception_fp_ieee_invalid_op 0
		.amdhsa_exception_fp_denorm_src 0
		.amdhsa_exception_fp_ieee_div_zero 0
		.amdhsa_exception_fp_ieee_overflow 0
		.amdhsa_exception_fp_ieee_underflow 0
		.amdhsa_exception_fp_ieee_inexact 0
		.amdhsa_exception_int_div_zero 0
	.end_amdhsa_kernel
	.text
.Lfunc_end0:
	.size	_Z13matern_kernelifPKfS0_S0_Pf, .Lfunc_end0-_Z13matern_kernelifPKfS0_S0_Pf
                                        ; -- End function
	.set _Z13matern_kernelifPKfS0_S0_Pf.num_vgpr, 23
	.set _Z13matern_kernelifPKfS0_S0_Pf.num_agpr, 0
	.set _Z13matern_kernelifPKfS0_S0_Pf.numbered_sgpr, 10
	.set _Z13matern_kernelifPKfS0_S0_Pf.num_named_barrier, 0
	.set _Z13matern_kernelifPKfS0_S0_Pf.private_seg_size, 0
	.set _Z13matern_kernelifPKfS0_S0_Pf.uses_vcc, 1
	.set _Z13matern_kernelifPKfS0_S0_Pf.uses_flat_scratch, 0
	.set _Z13matern_kernelifPKfS0_S0_Pf.has_dyn_sized_stack, 0
	.set _Z13matern_kernelifPKfS0_S0_Pf.has_recursion, 0
	.set _Z13matern_kernelifPKfS0_S0_Pf.has_indirect_call, 0
	.section	.AMDGPU.csdata,"",@progbits
; Kernel info:
; codeLenInByte = 1316
; TotalNumSgprs: 12
; NumVgprs: 23
; ScratchSize: 0
; MemoryBound: 0
; FloatMode: 240
; IeeeMode: 1
; LDSByteSize: 4208 bytes/workgroup (compile time only)
; SGPRBlocks: 0
; VGPRBlocks: 2
; NumSGPRsForWavesPerEU: 12
; NumVGPRsForWavesPerEU: 23
; Occupancy: 16
; WaveLimiterHint : 0
; COMPUTE_PGM_RSRC2:SCRATCH_EN: 0
; COMPUTE_PGM_RSRC2:USER_SGPR: 6
; COMPUTE_PGM_RSRC2:TRAP_HANDLER: 0
; COMPUTE_PGM_RSRC2:TGID_X_EN: 1
; COMPUTE_PGM_RSRC2:TGID_Y_EN: 0
; COMPUTE_PGM_RSRC2:TGID_Z_EN: 0
; COMPUTE_PGM_RSRC2:TIDIG_COMP_CNT: 1
	.text
	.p2alignl 6, 3214868480
	.fill 48, 4, 3214868480
	.section	.AMDGPU.gpr_maximums,"",@progbits
	.set amdgpu.max_num_vgpr, 0
	.set amdgpu.max_num_agpr, 0
	.set amdgpu.max_num_sgpr, 0
	.text
	.type	__hip_cuid_c31a62bcf00cd88a,@object ; @__hip_cuid_c31a62bcf00cd88a
	.section	.bss,"aw",@nobits
	.globl	__hip_cuid_c31a62bcf00cd88a
__hip_cuid_c31a62bcf00cd88a:
	.byte	0                               ; 0x0
	.size	__hip_cuid_c31a62bcf00cd88a, 1

	.ident	"AMD clang version 22.0.0git (https://github.com/RadeonOpenCompute/llvm-project roc-7.2.4 26084 f58b06dce1f9c15707c5f808fd002e18c2accf7e)"
	.section	".note.GNU-stack","",@progbits
	.addrsig
	.addrsig_sym __hip_cuid_c31a62bcf00cd88a
	.amdgpu_metadata
---
amdhsa.kernels:
  - .args:
      - .offset:         0
        .size:           4
        .value_kind:     by_value
      - .offset:         4
        .size:           4
        .value_kind:     by_value
      - .actual_access:  read_only
        .address_space:  global
        .offset:         8
        .size:           8
        .value_kind:     global_buffer
      - .actual_access:  read_only
        .address_space:  global
        .offset:         16
        .size:           8
        .value_kind:     global_buffer
      - .actual_access:  read_only
        .address_space:  global
        .offset:         24
        .size:           8
        .value_kind:     global_buffer
      - .actual_access:  write_only
        .address_space:  global
        .offset:         32
        .size:           8
        .value_kind:     global_buffer
      - .offset:         40
        .size:           4
        .value_kind:     hidden_block_count_x
      - .offset:         44
        .size:           4
        .value_kind:     hidden_block_count_y
      - .offset:         48
        .size:           4
        .value_kind:     hidden_block_count_z
      - .offset:         52
        .size:           2
        .value_kind:     hidden_group_size_x
      - .offset:         54
        .size:           2
        .value_kind:     hidden_group_size_y
      - .offset:         56
        .size:           2
        .value_kind:     hidden_group_size_z
      - .offset:         58
        .size:           2
        .value_kind:     hidden_remainder_x
      - .offset:         60
        .size:           2
        .value_kind:     hidden_remainder_y
      - .offset:         62
        .size:           2
        .value_kind:     hidden_remainder_z
      - .offset:         80
        .size:           8
        .value_kind:     hidden_global_offset_x
      - .offset:         88
        .size:           8
        .value_kind:     hidden_global_offset_y
      - .offset:         96
        .size:           8
        .value_kind:     hidden_global_offset_z
      - .offset:         104
        .size:           2
        .value_kind:     hidden_grid_dims
    .group_segment_fixed_size: 4208
    .kernarg_segment_align: 8
    .kernarg_segment_size: 296
    .language:       OpenCL C
    .language_version:
      - 2
      - 0
    .max_flat_workgroup_size: 1024
    .name:           _Z13matern_kernelifPKfS0_S0_Pf
    .private_segment_fixed_size: 0
    .sgpr_count:     12
    .sgpr_spill_count: 0
    .symbol:         _Z13matern_kernelifPKfS0_S0_Pf.kd
    .uniform_work_group_size: 1
    .uses_dynamic_stack: false
    .vgpr_count:     23
    .vgpr_spill_count: 0
    .wavefront_size: 32
    .workgroup_processor_mode: 1
amdhsa.target:   amdgcn-amd-amdhsa--gfx1030
amdhsa.version:
  - 1
  - 2
...

	.end_amdgpu_metadata
